;; amdgpu-corpus repo=ROCm/rocFFT kind=compiled arch=gfx906 opt=O3
	.text
	.amdgcn_target "amdgcn-amd-amdhsa--gfx906"
	.amdhsa_code_object_version 6
	.protected	fft_rtc_back_len720_factors_10_3_8_3_wgs_240_tpt_120_halfLds_dp_op_CI_CI_unitstride_sbrr_R2C_dirReg ; -- Begin function fft_rtc_back_len720_factors_10_3_8_3_wgs_240_tpt_120_halfLds_dp_op_CI_CI_unitstride_sbrr_R2C_dirReg
	.globl	fft_rtc_back_len720_factors_10_3_8_3_wgs_240_tpt_120_halfLds_dp_op_CI_CI_unitstride_sbrr_R2C_dirReg
	.p2align	8
	.type	fft_rtc_back_len720_factors_10_3_8_3_wgs_240_tpt_120_halfLds_dp_op_CI_CI_unitstride_sbrr_R2C_dirReg,@function
fft_rtc_back_len720_factors_10_3_8_3_wgs_240_tpt_120_halfLds_dp_op_CI_CI_unitstride_sbrr_R2C_dirReg: ; @fft_rtc_back_len720_factors_10_3_8_3_wgs_240_tpt_120_halfLds_dp_op_CI_CI_unitstride_sbrr_R2C_dirReg
; %bb.0:
	s_load_dwordx4 s[8:11], s[4:5], 0x58
	s_load_dwordx4 s[12:15], s[4:5], 0x0
	;; [unrolled: 1-line block ×3, first 2 shown]
	v_mul_u32_u24_e32 v1, 0x223, v0
	v_lshrrev_b32_e32 v7, 16, v1
	v_mov_b32_e32 v3, 0
	s_waitcnt lgkmcnt(0)
	v_cmp_lt_u64_e64 s[0:1], s[14:15], 2
	v_mov_b32_e32 v1, 0
	v_lshl_add_u32 v5, s6, 1, v7
	v_mov_b32_e32 v6, v3
	s_and_b64 vcc, exec, s[0:1]
	v_mov_b32_e32 v2, 0
	s_cbranch_vccnz .LBB0_8
; %bb.1:
	s_load_dwordx2 s[0:1], s[4:5], 0x10
	s_add_u32 s2, s18, 8
	s_addc_u32 s3, s19, 0
	s_add_u32 s6, s16, 8
	v_mov_b32_e32 v1, 0
	s_addc_u32 s7, s17, 0
	v_mov_b32_e32 v2, 0
	s_waitcnt lgkmcnt(0)
	s_add_u32 s20, s0, 8
	v_mov_b32_e32 v49, v2
	s_addc_u32 s21, s1, 0
	s_mov_b64 s[22:23], 1
	v_mov_b32_e32 v48, v1
.LBB0_2:                                ; =>This Inner Loop Header: Depth=1
	s_load_dwordx2 s[24:25], s[20:21], 0x0
                                        ; implicit-def: $vgpr50_vgpr51
	s_waitcnt lgkmcnt(0)
	v_or_b32_e32 v4, s25, v6
	v_cmp_ne_u64_e32 vcc, 0, v[3:4]
	s_and_saveexec_b64 s[0:1], vcc
	s_xor_b64 s[26:27], exec, s[0:1]
	s_cbranch_execz .LBB0_4
; %bb.3:                                ;   in Loop: Header=BB0_2 Depth=1
	v_cvt_f32_u32_e32 v4, s24
	v_cvt_f32_u32_e32 v8, s25
	s_sub_u32 s0, 0, s24
	s_subb_u32 s1, 0, s25
	v_mac_f32_e32 v4, 0x4f800000, v8
	v_rcp_f32_e32 v4, v4
	v_mul_f32_e32 v4, 0x5f7ffffc, v4
	v_mul_f32_e32 v8, 0x2f800000, v4
	v_trunc_f32_e32 v8, v8
	v_mac_f32_e32 v4, 0xcf800000, v8
	v_cvt_u32_f32_e32 v8, v8
	v_cvt_u32_f32_e32 v4, v4
	v_mul_lo_u32 v9, s0, v8
	v_mul_hi_u32 v10, s0, v4
	v_mul_lo_u32 v12, s1, v4
	v_mul_lo_u32 v11, s0, v4
	v_add_u32_e32 v9, v10, v9
	v_add_u32_e32 v9, v9, v12
	v_mul_hi_u32 v10, v4, v11
	v_mul_lo_u32 v12, v4, v9
	v_mul_hi_u32 v14, v4, v9
	v_mul_hi_u32 v13, v8, v11
	v_mul_lo_u32 v11, v8, v11
	v_mul_hi_u32 v15, v8, v9
	v_add_co_u32_e32 v10, vcc, v10, v12
	v_addc_co_u32_e32 v12, vcc, 0, v14, vcc
	v_mul_lo_u32 v9, v8, v9
	v_add_co_u32_e32 v10, vcc, v10, v11
	v_addc_co_u32_e32 v10, vcc, v12, v13, vcc
	v_addc_co_u32_e32 v11, vcc, 0, v15, vcc
	v_add_co_u32_e32 v9, vcc, v10, v9
	v_addc_co_u32_e32 v10, vcc, 0, v11, vcc
	v_add_co_u32_e32 v4, vcc, v4, v9
	v_addc_co_u32_e32 v8, vcc, v8, v10, vcc
	v_mul_lo_u32 v9, s0, v8
	v_mul_hi_u32 v10, s0, v4
	v_mul_lo_u32 v11, s1, v4
	v_mul_lo_u32 v12, s0, v4
	v_add_u32_e32 v9, v10, v9
	v_add_u32_e32 v9, v9, v11
	v_mul_lo_u32 v13, v4, v9
	v_mul_hi_u32 v14, v4, v12
	v_mul_hi_u32 v15, v4, v9
	;; [unrolled: 1-line block ×3, first 2 shown]
	v_mul_lo_u32 v12, v8, v12
	v_mul_hi_u32 v10, v8, v9
	v_add_co_u32_e32 v13, vcc, v14, v13
	v_addc_co_u32_e32 v14, vcc, 0, v15, vcc
	v_mul_lo_u32 v9, v8, v9
	v_add_co_u32_e32 v12, vcc, v13, v12
	v_addc_co_u32_e32 v11, vcc, v14, v11, vcc
	v_addc_co_u32_e32 v10, vcc, 0, v10, vcc
	v_add_co_u32_e32 v9, vcc, v11, v9
	v_addc_co_u32_e32 v10, vcc, 0, v10, vcc
	v_add_co_u32_e32 v4, vcc, v4, v9
	v_addc_co_u32_e32 v10, vcc, v8, v10, vcc
	v_mad_u64_u32 v[8:9], s[0:1], v5, v10, 0
	v_mul_hi_u32 v11, v5, v4
	v_add_co_u32_e32 v12, vcc, v11, v8
	v_addc_co_u32_e32 v13, vcc, 0, v9, vcc
	v_mad_u64_u32 v[8:9], s[0:1], v6, v4, 0
	v_mad_u64_u32 v[10:11], s[0:1], v6, v10, 0
	v_add_co_u32_e32 v4, vcc, v12, v8
	v_addc_co_u32_e32 v4, vcc, v13, v9, vcc
	v_addc_co_u32_e32 v8, vcc, 0, v11, vcc
	v_add_co_u32_e32 v4, vcc, v4, v10
	v_addc_co_u32_e32 v10, vcc, 0, v8, vcc
	v_mul_lo_u32 v11, s25, v4
	v_mul_lo_u32 v12, s24, v10
	v_mad_u64_u32 v[8:9], s[0:1], s24, v4, 0
	v_add3_u32 v9, v9, v12, v11
	v_sub_u32_e32 v11, v6, v9
	v_mov_b32_e32 v12, s25
	v_sub_co_u32_e32 v8, vcc, v5, v8
	v_subb_co_u32_e64 v11, s[0:1], v11, v12, vcc
	v_subrev_co_u32_e64 v12, s[0:1], s24, v8
	v_subbrev_co_u32_e64 v11, s[0:1], 0, v11, s[0:1]
	v_cmp_le_u32_e64 s[0:1], s25, v11
	v_cndmask_b32_e64 v13, 0, -1, s[0:1]
	v_cmp_le_u32_e64 s[0:1], s24, v12
	v_cndmask_b32_e64 v12, 0, -1, s[0:1]
	v_cmp_eq_u32_e64 s[0:1], s25, v11
	v_cndmask_b32_e64 v11, v13, v12, s[0:1]
	v_add_co_u32_e64 v12, s[0:1], 2, v4
	v_addc_co_u32_e64 v13, s[0:1], 0, v10, s[0:1]
	v_add_co_u32_e64 v14, s[0:1], 1, v4
	v_addc_co_u32_e64 v15, s[0:1], 0, v10, s[0:1]
	v_subb_co_u32_e32 v9, vcc, v6, v9, vcc
	v_cmp_ne_u32_e64 s[0:1], 0, v11
	v_cmp_le_u32_e32 vcc, s25, v9
	v_cndmask_b32_e64 v11, v15, v13, s[0:1]
	v_cndmask_b32_e64 v13, 0, -1, vcc
	v_cmp_le_u32_e32 vcc, s24, v8
	v_cndmask_b32_e64 v8, 0, -1, vcc
	v_cmp_eq_u32_e32 vcc, s25, v9
	v_cndmask_b32_e32 v8, v13, v8, vcc
	v_cmp_ne_u32_e32 vcc, 0, v8
	v_cndmask_b32_e64 v8, v14, v12, s[0:1]
	v_cndmask_b32_e32 v51, v10, v11, vcc
	v_cndmask_b32_e32 v50, v4, v8, vcc
.LBB0_4:                                ;   in Loop: Header=BB0_2 Depth=1
	s_andn2_saveexec_b64 s[0:1], s[26:27]
	s_cbranch_execz .LBB0_6
; %bb.5:                                ;   in Loop: Header=BB0_2 Depth=1
	v_cvt_f32_u32_e32 v4, s24
	s_sub_i32 s26, 0, s24
	v_mov_b32_e32 v51, v3
	v_rcp_iflag_f32_e32 v4, v4
	v_mul_f32_e32 v4, 0x4f7ffffe, v4
	v_cvt_u32_f32_e32 v4, v4
	v_mul_lo_u32 v8, s26, v4
	v_mul_hi_u32 v8, v4, v8
	v_add_u32_e32 v4, v4, v8
	v_mul_hi_u32 v4, v5, v4
	v_mul_lo_u32 v8, v4, s24
	v_add_u32_e32 v9, 1, v4
	v_sub_u32_e32 v8, v5, v8
	v_subrev_u32_e32 v10, s24, v8
	v_cmp_le_u32_e32 vcc, s24, v8
	v_cndmask_b32_e32 v8, v8, v10, vcc
	v_cndmask_b32_e32 v4, v4, v9, vcc
	v_add_u32_e32 v9, 1, v4
	v_cmp_le_u32_e32 vcc, s24, v8
	v_cndmask_b32_e32 v50, v4, v9, vcc
.LBB0_6:                                ;   in Loop: Header=BB0_2 Depth=1
	s_or_b64 exec, exec, s[0:1]
	v_mul_lo_u32 v4, v51, s24
	v_mul_lo_u32 v10, v50, s25
	v_mad_u64_u32 v[8:9], s[0:1], v50, s24, 0
	s_load_dwordx2 s[0:1], s[6:7], 0x0
	s_load_dwordx2 s[24:25], s[2:3], 0x0
	v_add3_u32 v4, v9, v10, v4
	v_sub_co_u32_e32 v5, vcc, v5, v8
	v_subb_co_u32_e32 v4, vcc, v6, v4, vcc
	s_waitcnt lgkmcnt(0)
	v_mul_lo_u32 v6, s0, v4
	v_mul_lo_u32 v8, s1, v5
	v_mad_u64_u32 v[1:2], s[0:1], s0, v5, v[1:2]
	v_mul_lo_u32 v4, s24, v4
	v_mul_lo_u32 v9, s25, v5
	v_mad_u64_u32 v[48:49], s[0:1], s24, v5, v[48:49]
	s_add_u32 s22, s22, 1
	s_addc_u32 s23, s23, 0
	s_add_u32 s2, s2, 8
	v_add3_u32 v49, v9, v49, v4
	s_addc_u32 s3, s3, 0
	v_mov_b32_e32 v4, s14
	s_add_u32 s6, s6, 8
	v_mov_b32_e32 v5, s15
	s_addc_u32 s7, s7, 0
	v_cmp_ge_u64_e32 vcc, s[22:23], v[4:5]
	s_add_u32 s20, s20, 8
	v_add3_u32 v2, v8, v2, v6
	s_addc_u32 s21, s21, 0
	s_cbranch_vccnz .LBB0_9
; %bb.7:                                ;   in Loop: Header=BB0_2 Depth=1
	v_mov_b32_e32 v5, v50
	v_mov_b32_e32 v6, v51
	s_branch .LBB0_2
.LBB0_8:
	v_mov_b32_e32 v49, v2
	v_mov_b32_e32 v51, v6
	;; [unrolled: 1-line block ×4, first 2 shown]
.LBB0_9:
	s_load_dwordx2 s[2:3], s[4:5], 0x28
	s_lshl_b64 s[6:7], s[14:15], 3
	s_add_u32 s4, s18, s6
	v_and_b32_e32 v3, 1, v7
	s_addc_u32 s5, s19, s7
	s_waitcnt lgkmcnt(0)
	v_cmp_gt_u64_e64 s[0:1], s[2:3], v[50:51]
	v_cmp_le_u64_e64 s[2:3], s[2:3], v[50:51]
	v_cmp_eq_u32_e32 vcc, 1, v3
	v_mov_b32_e32 v3, 0x2d1
                                        ; implicit-def: $vgpr52
	s_and_saveexec_b64 s[14:15], s[2:3]
	s_xor_b64 s[2:3], exec, s[14:15]
; %bb.10:
	s_mov_b32 s14, 0x2222223
	v_mul_hi_u32 v1, v0, s14
	v_mul_u32_u24_e32 v1, 0x78, v1
	v_sub_u32_e32 v52, v0, v1
                                        ; implicit-def: $vgpr0
                                        ; implicit-def: $vgpr1_vgpr2
; %bb.11:
	s_or_saveexec_b64 s[2:3], s[2:3]
	v_cndmask_b32_e32 v121, 0, v3, vcc
	v_lshlrev_b32_e32 v123, 4, v121
	s_xor_b64 exec, exec, s[2:3]
	s_cbranch_execz .LBB0_13
; %bb.12:
	s_add_u32 s6, s16, s6
	s_addc_u32 s7, s17, s7
	s_load_dwordx2 s[6:7], s[6:7], 0x0
	s_mov_b32 s14, 0x2222223
	v_mul_hi_u32 v5, v0, s14
	s_waitcnt lgkmcnt(0)
	v_mul_lo_u32 v6, s7, v50
	v_mul_lo_u32 v7, s6, v51
	v_mad_u64_u32 v[3:4], s[6:7], s6, v50, 0
	v_mul_u32_u24_e32 v5, 0x78, v5
	v_sub_u32_e32 v52, v0, v5
	v_add3_u32 v4, v4, v7, v6
	v_lshlrev_b64 v[3:4], 4, v[3:4]
	v_mov_b32_e32 v0, s9
	v_add_co_u32_e32 v3, vcc, s8, v3
	v_addc_co_u32_e32 v4, vcc, v0, v4, vcc
	v_lshlrev_b64 v[0:1], 4, v[1:2]
	v_lshlrev_b32_e32 v28, 4, v52
	v_add_co_u32_e32 v0, vcc, v3, v0
	v_addc_co_u32_e32 v1, vcc, v4, v1, vcc
	v_add_co_u32_e32 v16, vcc, v0, v28
	v_addc_co_u32_e32 v17, vcc, 0, v1, vcc
	;; [unrolled: 2-line block ×3, first 2 shown]
	v_add_co_u32_e32 v26, vcc, 0x2000, v16
	global_load_dwordx4 v[0:3], v[16:17], off
	global_load_dwordx4 v[4:7], v[16:17], off offset:1920
	global_load_dwordx4 v[8:11], v[16:17], off offset:3840
	;; [unrolled: 1-line block ×3, first 2 shown]
	v_addc_co_u32_e32 v27, vcc, 0, v17, vcc
	global_load_dwordx4 v[16:19], v[24:25], off offset:3584
	global_load_dwordx4 v[20:23], v[26:27], off offset:1408
	v_add3_u32 v24, 0, v123, v28
	s_waitcnt vmcnt(5)
	ds_write_b128 v24, v[0:3]
	s_waitcnt vmcnt(4)
	ds_write_b128 v24, v[4:7] offset:1920
	s_waitcnt vmcnt(3)
	ds_write_b128 v24, v[8:11] offset:3840
	;; [unrolled: 2-line block ×5, first 2 shown]
.LBB0_13:
	s_or_b64 exec, exec, s[2:3]
	v_lshlrev_b32_e32 v119, 4, v52
	v_add_u32_e32 v122, 0, v119
	v_add_u32_e32 v120, v122, v123
	s_waitcnt lgkmcnt(0)
	s_barrier
	ds_read_b128 v[8:11], v120 offset:4608
	ds_read_b128 v[16:19], v120 offset:2304
	;; [unrolled: 1-line block ×6, first 2 shown]
	s_waitcnt lgkmcnt(4)
	v_add_f64 v[0:1], v[16:17], -v[8:9]
	ds_read_b128 v[32:35], v120 offset:8064
	ds_read_b128 v[24:27], v120 offset:10368
	v_add_f64 v[40:41], v[18:19], -v[10:11]
	s_waitcnt lgkmcnt(3)
	v_add_f64 v[2:3], v[20:21], -v[28:29]
	s_waitcnt lgkmcnt(2)
	v_add_f64 v[55:56], v[12:13], -v[36:37]
	v_add_f64 v[42:43], v[22:23], -v[30:31]
	s_waitcnt lgkmcnt(0)
	v_add_f64 v[63:64], v[24:25], -v[32:33]
	v_add_f64 v[4:5], v[8:9], -v[16:17]
	;; [unrolled: 1-line block ×5, first 2 shown]
	v_add_f64 v[61:62], v[0:1], v[2:3]
	v_add_f64 v[0:1], v[36:37], -v[12:13]
	v_add_f64 v[2:3], v[32:33], -v[24:25]
	v_add_f64 v[55:56], v[55:56], v[63:64]
	v_add_f64 v[63:64], v[38:39], v[34:35]
	;; [unrolled: 1-line block ×4, first 2 shown]
	ds_read_b128 v[40:43], v120 offset:1152
	v_add_u32_e32 v117, 0, v123
	v_add_u32_e32 v118, v117, v119
	v_add_f64 v[81:82], v[0:1], v[2:3]
	v_add_f64 v[2:3], v[14:15], v[26:27]
	;; [unrolled: 1-line block ×4, first 2 shown]
	ds_read_b128 v[44:47], v118
	v_add_f64 v[4:5], v[14:15], -v[38:39]
	v_add_f64 v[6:7], v[26:27], -v[34:35]
	;; [unrolled: 1-line block ×4, first 2 shown]
	s_waitcnt lgkmcnt(1)
	v_fma_f64 v[111:112], v[63:64], -0.5, v[42:43]
	v_add_f64 v[89:90], v[12:13], -v[24:25]
	v_fma_f64 v[107:108], v[69:70], -0.5, v[40:41]
	v_add_f64 v[87:88], v[14:15], -v[26:27]
	v_add_f64 v[95:96], v[36:37], -v[32:33]
	v_fma_f64 v[109:110], v[2:3], -0.5, v[42:43]
	v_add_f64 v[2:3], v[12:13], v[24:25]
	s_mov_b32 s6, 0x134454ff
	s_mov_b32 s7, 0x3fee6f0e
	;; [unrolled: 1-line block ×4, first 2 shown]
	v_add_f64 v[91:92], v[4:5], v[6:7]
	v_add_f64 v[83:84], v[65:66], v[67:68]
	v_fma_f64 v[0:1], v[89:90], s[6:7], v[111:112]
	v_fma_f64 v[4:5], v[87:88], s[2:3], v[107:108]
	v_add_f64 v[93:94], v[38:39], -v[34:35]
	v_fma_f64 v[6:7], v[95:96], s[2:3], v[109:110]
	v_fma_f64 v[113:114], v[2:3], -0.5, v[40:41]
	v_add_f64 v[2:3], v[8:9], v[28:29]
	v_add_f64 v[63:64], v[16:17], v[20:21]
	;; [unrolled: 1-line block ×4, first 2 shown]
	s_mov_b32 s14, 0x4755a5e
	s_mov_b32 s15, 0x3fe2cf23
	;; [unrolled: 1-line block ×4, first 2 shown]
	v_fma_f64 v[0:1], v[95:96], s[14:15], v[0:1]
	v_fma_f64 v[4:5], v[93:94], s[18:19], v[4:5]
	;; [unrolled: 1-line block ×4, first 2 shown]
	s_waitcnt lgkmcnt(0)
	v_fma_f64 v[85:86], v[2:3], -0.5, v[44:45]
	v_fma_f64 v[79:80], v[63:64], -0.5, v[44:45]
	v_add_f64 v[103:104], v[18:19], -v[22:23]
	v_add_f64 v[105:106], v[10:11], -v[30:31]
	v_fma_f64 v[115:116], v[65:66], -0.5, v[46:47]
	v_add_f64 v[99:100], v[16:17], -v[20:21]
	v_fma_f64 v[97:98], v[67:68], -0.5, v[46:47]
	v_add_f64 v[101:102], v[8:9], -v[28:29]
	s_mov_b32 s9, 0x3fd3c6ef
	s_mov_b32 s8, 0x372fe950
	v_fma_f64 v[0:1], v[91:92], s[8:9], v[0:1]
	v_fma_f64 v[4:5], v[55:56], s[8:9], v[4:5]
	;; [unrolled: 1-line block ×8, first 2 shown]
	v_mul_f64 v[63:64], v[0:1], s[18:19]
	v_mul_f64 v[73:74], v[4:5], s[14:15]
	v_fma_f64 v[2:3], v[81:82], s[8:9], v[2:3]
	v_mul_f64 v[75:76], v[6:7], s[2:3]
	v_mul_f64 v[6:7], v[6:7], s[8:9]
	v_fma_f64 v[77:78], v[105:106], s[18:19], v[65:66]
	v_fma_f64 v[124:125], v[101:102], s[14:15], v[67:68]
	;; [unrolled: 1-line block ×4, first 2 shown]
	s_mov_b32 s17, 0x3fe9e377
	s_mov_b32 s16, 0x9b97f4a8
	v_fma_f64 v[63:64], v[4:5], s[16:17], v[63:64]
	v_fma_f64 v[71:72], v[0:1], s[16:17], v[73:74]
	;; [unrolled: 1-line block ×8, first 2 shown]
	s_movk_i32 s2, 0x48
	v_cmp_gt_u32_e32 vcc, s2, v52
	s_barrier
	v_add_f64 v[0:1], v[67:68], -v[63:64]
	v_add_f64 v[2:3], v[73:74], -v[71:72]
	;; [unrolled: 1-line block ×4, first 2 shown]
	s_and_saveexec_b64 s[2:3], vcc
	s_cbranch_execz .LBB0_15
; %bb.14:
	v_mul_f64 v[124:125], v[89:90], s[6:7]
	v_mul_f64 v[91:92], v[91:92], s[8:9]
	;; [unrolled: 1-line block ×5, first 2 shown]
	v_add_f64 v[18:19], v[46:47], v[18:19]
	v_add_f64 v[14:15], v[42:43], v[14:15]
	;; [unrolled: 1-line block ×3, first 2 shown]
	v_add_f64 v[111:112], v[111:112], -v[124:125]
	v_mul_f64 v[124:125], v[87:88], s[6:7]
	v_mul_f64 v[87:88], v[87:88], s[14:15]
	v_add_f64 v[12:13], v[40:41], v[12:13]
	v_mul_f64 v[81:82], v[81:82], s[8:9]
	v_add_f64 v[10:11], v[18:19], v[10:11]
	v_add_f64 v[14:15], v[14:15], v[38:39]
	;; [unrolled: 1-line block ×3, first 2 shown]
	v_mul_f64 v[61:62], v[61:62], s[8:9]
	v_add_f64 v[107:108], v[107:108], v[124:125]
	v_mul_f64 v[124:125], v[95:96], s[6:7]
	v_mul_f64 v[95:96], v[95:96], s[14:15]
	v_add_f64 v[12:13], v[12:13], v[36:37]
	v_mul_f64 v[59:60], v[59:60], s[8:9]
	v_mul_f64 v[57:58], v[57:58], s[8:9]
	;; [unrolled: 1-line block ×3, first 2 shown]
	s_mov_b32 s9, 0xbfd3c6ef
	v_add_f64 v[10:11], v[10:11], v[30:31]
	v_add_f64 v[109:110], v[124:125], v[109:110]
	v_mul_f64 v[124:125], v[99:100], s[6:7]
	v_add_f64 v[95:96], v[111:112], -v[95:96]
	v_mul_f64 v[111:112], v[103:104], s[6:7]
	v_mul_f64 v[103:104], v[103:104], s[14:15]
	;; [unrolled: 1-line block ×3, first 2 shown]
	v_add_f64 v[14:15], v[14:15], v[34:35]
	v_add_f64 v[8:9], v[8:9], v[28:29]
	v_add_f64 v[89:90], v[109:110], -v[89:90]
	v_add_f64 v[115:116], v[115:116], -v[124:125]
	v_mul_f64 v[124:125], v[93:94], s[6:7]
	v_mul_f64 v[93:94], v[93:94], s[14:15]
	v_add_f64 v[91:92], v[91:92], v[95:96]
	v_mul_f64 v[95:96], v[101:102], s[14:15]
	v_mul_f64 v[101:102], v[101:102], s[6:7]
	v_add_f64 v[18:19], v[85:86], v[111:112]
	v_add_f64 v[83:84], v[83:84], v[89:90]
	;; [unrolled: 1-line block ×3, first 2 shown]
	v_add_f64 v[113:114], v[113:114], -v[124:125]
	v_add_f64 v[93:94], v[93:94], v[107:108]
	v_mul_f64 v[107:108], v[105:106], s[14:15]
	v_mul_f64 v[105:106], v[105:106], s[6:7]
	s_mov_b32 s17, 0xbfe9e377
	v_add_f64 v[95:96], v[115:116], -v[95:96]
	v_mul_f64 v[30:31], v[91:92], s[14:15]
	v_mul_f64 v[34:35], v[83:84], s[6:7]
	v_add_f64 v[87:88], v[87:88], v[113:114]
	v_add_f64 v[55:56], v[55:56], v[93:94]
	;; [unrolled: 1-line block ×3, first 2 shown]
	v_add_f64 v[40:41], v[79:80], -v[105:106]
	v_add_f64 v[18:19], v[107:108], v[18:19]
	v_mul_f64 v[97:98], v[91:92], s[16:17]
	v_add_f64 v[36:37], v[10:11], v[22:23]
	v_add_f64 v[42:43], v[57:58], v[95:96]
	;; [unrolled: 1-line block ×3, first 2 shown]
	v_mul_f64 v[87:88], v[83:84], s[8:9]
	v_add_f64 v[46:47], v[93:94], -v[99:100]
	v_add_f64 v[16:17], v[103:104], v[40:41]
	v_add_f64 v[40:41], v[14:15], v[26:27]
	v_fma_f64 v[57:58], v[55:56], s[14:15], v[97:98]
	v_add_f64 v[32:33], v[67:68], v[63:64]
	v_add_f64 v[28:29], v[69:70], v[65:66]
	v_fma_f64 v[44:45], v[81:82], s[6:7], v[87:88]
	v_add_f64 v[38:39], v[53:54], v[46:47]
	v_add_f64 v[46:47], v[61:62], v[18:19]
	;; [unrolled: 1-line block ×5, first 2 shown]
	v_fma_f64 v[53:54], v[55:56], s[16:17], -v[30:31]
	v_fma_f64 v[55:56], v[81:82], s[8:9], -v[34:35]
	v_add_f64 v[18:19], v[36:37], -v[40:41]
	v_add_f64 v[14:15], v[38:39], -v[44:45]
	v_add_f64 v[26:27], v[38:39], v[44:45]
	v_add_f64 v[38:39], v[36:37], v[40:41]
	;; [unrolled: 1-line block ×8, first 2 shown]
	v_add_f64 v[12:13], v[16:17], -v[55:56]
	v_add_f64 v[16:17], v[59:60], -v[61:62]
	v_mul_u32_u24_e32 v40, 0x90, v52
	v_add3_u32 v40, v122, v40, v123
	v_add_f64 v[10:11], v[42:43], -v[57:58]
	v_add_f64 v[8:9], v[46:47], -v[53:54]
	ds_write_b128 v40, v[36:39]
	ds_write_b128 v40, v[32:35] offset:16
	ds_write_b128 v40, v[28:31] offset:32
	;; [unrolled: 1-line block ×9, first 2 shown]
.LBB0_15:
	s_or_b64 exec, exec, s[2:3]
	s_load_dwordx2 s[2:3], s[4:5], 0x0
	s_movk_i32 s4, 0xcd
	v_mul_lo_u16_sdwa v8, v52, s4 dst_sel:DWORD dst_unused:UNUSED_PAD src0_sel:BYTE_0 src1_sel:DWORD
	v_lshrrev_b16_e32 v45, 11, v8
	v_mul_lo_u16_e32 v8, 10, v45
	v_sub_u16_e32 v46, v52, v8
	v_mov_b32_e32 v16, 5
	v_add_u32_e32 v32, 0x78, v52
	v_lshlrev_b32_sdwa v17, v16, v46 dst_sel:DWORD dst_unused:UNUSED_PAD src0_sel:DWORD src1_sel:BYTE_0
	s_waitcnt lgkmcnt(0)
	s_barrier
	global_load_dwordx4 v[8:11], v17, s[12:13] offset:16
	global_load_dwordx4 v[12:15], v17, s[12:13]
	v_mul_lo_u16_sdwa v17, v32, s4 dst_sel:DWORD dst_unused:UNUSED_PAD src0_sel:BYTE_0 src1_sel:DWORD
	v_lshrrev_b16_e32 v47, 11, v17
	v_mul_lo_u16_e32 v17, 10, v47
	v_sub_u16_e32 v57, v32, v17
	v_lshlrev_b32_sdwa v24, v16, v57 dst_sel:DWORD dst_unused:UNUSED_PAD src0_sel:DWORD src1_sel:BYTE_0
	global_load_dwordx4 v[16:19], v24, s[12:13]
	global_load_dwordx4 v[20:23], v24, s[12:13] offset:16
	ds_read_b128 v[24:27], v118
	ds_read_b128 v[28:31], v120 offset:1920
	ds_read_b128 v[33:36], v120 offset:3840
	;; [unrolled: 1-line block ×5, first 2 shown]
	s_movk_i32 s8, 0x1e0
	v_mov_b32_e32 v58, 4
	v_mad_u32_u24 v63, v45, s8, 0
	v_lshlrev_b32_sdwa v64, v58, v46 dst_sel:DWORD dst_unused:UNUSED_PAD src0_sel:DWORD src1_sel:BYTE_0
	v_lshlrev_b32_sdwa v65, v58, v57 dst_sel:DWORD dst_unused:UNUSED_PAD src0_sel:DWORD src1_sel:BYTE_0
	s_mov_b32 s4, 0xe8584caa
	s_mov_b32 s5, 0xbfebb67a
	;; [unrolled: 1-line block ×4, first 2 shown]
	s_movk_i32 s9, 0x5a
	v_mad_u32_u24 v47, v47, s8, 0
	v_cmp_gt_u32_e32 vcc, s9, v52
	s_waitcnt vmcnt(0) lgkmcnt(0)
	s_barrier
	v_mul_f64 v[57:58], v[43:44], v[10:11]
	v_mul_f64 v[45:46], v[35:36], v[14:15]
	;; [unrolled: 1-line block ×8, first 2 shown]
	v_fma_f64 v[33:34], v[33:34], v[12:13], v[45:46]
	v_fma_f64 v[12:13], v[35:36], v[12:13], -v[14:15]
	v_fma_f64 v[14:15], v[41:42], v[8:9], v[57:58]
	v_fma_f64 v[10:11], v[43:44], v[8:9], -v[10:11]
	;; [unrolled: 2-line block ×4, first 2 shown]
	v_add_f64 v[20:21], v[24:25], v[33:34]
	v_add_f64 v[39:40], v[26:27], v[12:13]
	;; [unrolled: 1-line block ×3, first 2 shown]
	v_add_f64 v[37:38], v[12:13], -v[10:11]
	v_add_f64 v[12:13], v[12:13], v[10:11]
	v_add_f64 v[53:54], v[30:31], v[16:17]
	;; [unrolled: 1-line block ×3, first 2 shown]
	v_add_f64 v[45:46], v[16:17], -v[22:23]
	v_add_f64 v[16:17], v[16:17], v[22:23]
	v_add_f64 v[33:34], v[33:34], -v[14:15]
	v_add_f64 v[41:42], v[28:29], v[8:9]
	v_add_f64 v[55:56], v[8:9], -v[18:19]
	v_fma_f64 v[24:25], v[35:36], -0.5, v[24:25]
	v_fma_f64 v[26:27], v[12:13], -0.5, v[26:27]
	;; [unrolled: 1-line block ×3, first 2 shown]
	v_add_f64 v[8:9], v[20:21], v[14:15]
	v_fma_f64 v[30:31], v[16:17], -0.5, v[30:31]
	v_add_f64 v[10:11], v[39:40], v[10:11]
	v_add_f64 v[20:21], v[41:42], v[18:19]
	;; [unrolled: 1-line block ×3, first 2 shown]
	v_fma_f64 v[12:13], v[37:38], s[4:5], v[24:25]
	v_fma_f64 v[16:17], v[37:38], s[6:7], v[24:25]
	;; [unrolled: 1-line block ×8, first 2 shown]
	v_add3_u32 v33, v63, v64, v123
	v_add3_u32 v34, v47, v65, v123
	ds_write_b128 v33, v[8:11]
	ds_write_b128 v33, v[12:15] offset:160
	ds_write_b128 v33, v[16:19] offset:320
	ds_write_b128 v34, v[20:23]
	ds_write_b128 v34, v[24:27] offset:160
	ds_write_b128 v34, v[28:31] offset:320
	s_waitcnt lgkmcnt(0)
	s_barrier
	s_and_saveexec_b64 s[4:5], vcc
	s_cbranch_execz .LBB0_17
; %bb.16:
	ds_read_b128 v[8:11], v118
	ds_read_b128 v[12:15], v120 offset:1440
	ds_read_b128 v[16:19], v120 offset:2880
	;; [unrolled: 1-line block ×7, first 2 shown]
.LBB0_17:
	s_or_b64 exec, exec, s[4:5]
	s_waitcnt lgkmcnt(0)
	s_barrier
	s_and_saveexec_b64 s[4:5], vcc
	s_cbranch_execz .LBB0_19
; %bb.18:
	s_movk_i32 s6, 0x89
	v_mul_lo_u16_sdwa v33, v52, s6 dst_sel:DWORD dst_unused:UNUSED_PAD src0_sel:BYTE_0 src1_sel:DWORD
	v_lshrrev_b16_e32 v47, 12, v33
	v_mul_lo_u16_e32 v33, 30, v47
	v_sub_u16_e32 v81, v52, v33
	v_mov_b32_e32 v33, 7
	v_mul_u32_u24_sdwa v33, v81, v33 dst_sel:DWORD dst_unused:UNUSED_PAD src0_sel:BYTE_0 src1_sel:DWORD
	v_lshlrev_b32_e32 v45, 4, v33
	global_load_dwordx4 v[33:36], v45, s[12:13] offset:368
	global_load_dwordx4 v[37:40], v45, s[12:13] offset:336
	global_load_dwordx4 v[41:44], v45, s[12:13] offset:400
	global_load_dwordx4 v[53:56], v45, s[12:13] offset:320
	global_load_dwordx4 v[57:60], v45, s[12:13] offset:384
	global_load_dwordx4 v[61:64], v45, s[12:13] offset:352
	global_load_dwordx4 v[65:68], v45, s[12:13] offset:416
	s_mov_b32 s6, 0x667f3bcd
	s_mov_b32 s7, 0x3fe6a09e
	;; [unrolled: 1-line block ×4, first 2 shown]
	s_movk_i32 s14, 0xf00
	v_mov_b32_e32 v82, 4
	v_mad_u32_u24 v47, v47, s14, 0
	s_waitcnt vmcnt(6)
	v_mul_f64 v[45:46], v[24:25], v[35:36]
	s_waitcnt vmcnt(5)
	v_mul_f64 v[69:70], v[18:19], v[39:40]
	;; [unrolled: 2-line block ×7, first 2 shown]
	v_mul_f64 v[55:56], v[14:15], v[55:56]
	v_mul_f64 v[59:60], v[30:31], v[59:60]
	;; [unrolled: 1-line block ×7, first 2 shown]
	v_fma_f64 v[26:27], v[26:27], v[33:34], -v[45:46]
	v_fma_f64 v[16:17], v[16:17], v[37:38], v[69:70]
	v_fma_f64 v[0:1], v[0:1], v[41:42], v[71:72]
	v_fma_f64 v[14:15], v[14:15], v[53:54], -v[73:74]
	v_fma_f64 v[30:31], v[30:31], v[57:58], -v[75:76]
	v_fma_f64 v[20:21], v[20:21], v[61:62], v[77:78]
	v_fma_f64 v[4:5], v[4:5], v[65:66], v[79:80]
	;; [unrolled: 1-line block ×4, first 2 shown]
	v_fma_f64 v[22:23], v[22:23], v[61:62], -v[63:64]
	v_fma_f64 v[18:19], v[18:19], v[37:38], -v[39:40]
	;; [unrolled: 1-line block ×4, first 2 shown]
	v_fma_f64 v[24:25], v[24:25], v[33:34], v[35:36]
	v_add_f64 v[26:27], v[10:11], -v[26:27]
	v_add_f64 v[0:1], v[16:17], -v[0:1]
	;; [unrolled: 1-line block ×8, first 2 shown]
	v_fma_f64 v[10:11], v[10:11], 2.0, -v[26:27]
	v_add_f64 v[33:34], v[26:27], -v[0:1]
	v_fma_f64 v[14:15], v[14:15], 2.0, -v[30:31]
	v_add_f64 v[35:36], v[30:31], -v[4:5]
	v_fma_f64 v[12:13], v[12:13], 2.0, -v[28:29]
	v_fma_f64 v[18:19], v[18:19], 2.0, -v[2:3]
	;; [unrolled: 1-line block ×6, first 2 shown]
	v_add_f64 v[6:7], v[28:29], v[6:7]
	v_add_f64 v[16:17], v[24:25], v[2:3]
	v_fma_f64 v[26:27], v[26:27], 2.0, -v[33:34]
	v_add_f64 v[22:23], v[10:11], -v[18:19]
	v_fma_f64 v[18:19], v[30:31], 2.0, -v[35:36]
	v_add_f64 v[4:5], v[12:13], -v[4:5]
	v_add_f64 v[20:21], v[14:15], -v[20:21]
	;; [unrolled: 1-line block ×3, first 2 shown]
	v_fma_f64 v[28:29], v[28:29], 2.0, -v[6:7]
	v_fma_f64 v[24:25], v[24:25], 2.0, -v[16:17]
	v_fma_f64 v[0:1], v[35:36], s[6:7], v[33:34]
	v_fma_f64 v[37:38], v[6:7], s[6:7], v[16:17]
	v_fma_f64 v[41:42], v[10:11], 2.0, -v[22:23]
	v_fma_f64 v[39:40], v[18:19], s[8:9], v[26:27]
	v_fma_f64 v[14:15], v[14:15], 2.0, -v[20:21]
	v_fma_f64 v[43:44], v[8:9], 2.0, -v[30:31]
	;; [unrolled: 1-line block ×3, first 2 shown]
	v_fma_f64 v[45:46], v[28:29], s[8:9], v[24:25]
	v_fma_f64 v[2:3], v[6:7], s[8:9], v[0:1]
	v_add_f64 v[6:7], v[22:23], -v[4:5]
	v_add_f64 v[4:5], v[30:31], v[20:21]
	v_fma_f64 v[0:1], v[35:36], s[6:7], v[37:38]
	v_add_f64 v[14:15], v[41:42], -v[14:15]
	v_fma_f64 v[10:11], v[28:29], s[8:9], v[39:40]
	v_add_f64 v[12:13], v[43:44], -v[8:9]
	v_fma_f64 v[8:9], v[18:19], s[6:7], v[45:46]
	v_fma_f64 v[18:19], v[33:34], 2.0, -v[2:3]
	v_fma_f64 v[22:23], v[22:23], 2.0, -v[6:7]
	;; [unrolled: 1-line block ×5, first 2 shown]
	v_lshlrev_b32_sdwa v53, v82, v81 dst_sel:DWORD dst_unused:UNUSED_PAD src0_sel:DWORD src1_sel:BYTE_0
	v_fma_f64 v[28:29], v[43:44], 2.0, -v[12:13]
	v_fma_f64 v[26:27], v[26:27], 2.0, -v[10:11]
	;; [unrolled: 1-line block ×3, first 2 shown]
	v_add3_u32 v33, v47, v53, v123
	ds_write_b128 v33, v[4:7] offset:2880
	ds_write_b128 v33, v[20:23] offset:960
	;; [unrolled: 1-line block ×5, first 2 shown]
	ds_write_b128 v33, v[28:31]
	ds_write_b128 v33, v[24:27] offset:480
	ds_write_b128 v33, v[0:3] offset:3360
.LBB0_19:
	s_or_b64 exec, exec, s[4:5]
	v_lshlrev_b32_e32 v1, 1, v52
	v_mov_b32_e32 v2, 0
	v_lshlrev_b64 v[0:1], 4, v[1:2]
	v_mov_b32_e32 v11, s13
	v_add_co_u32_e32 v0, vcc, s12, v0
	v_addc_co_u32_e32 v1, vcc, v11, v1, vcc
	s_waitcnt lgkmcnt(0)
	s_barrier
	global_load_dwordx4 v[3:6], v[0:1], off offset:3696
	global_load_dwordx4 v[7:10], v[0:1], off offset:3680
	v_lshlrev_b32_e32 v1, 1, v32
	v_lshlrev_b64 v[0:1], 4, v[1:2]
	s_mov_b32 s4, 0xe8584caa
	v_add_co_u32_e32 v0, vcc, s12, v0
	v_addc_co_u32_e32 v1, vcc, v11, v1, vcc
	global_load_dwordx4 v[11:14], v[0:1], off offset:3680
	global_load_dwordx4 v[15:18], v[0:1], off offset:3696
	ds_read_b128 v[19:22], v118
	ds_read_b128 v[23:26], v120 offset:1920
	ds_read_b128 v[27:30], v120 offset:3840
	;; [unrolled: 1-line block ×5, first 2 shown]
	s_mov_b32 s5, 0xbfebb67a
	s_mov_b32 s7, 0x3febb67a
	;; [unrolled: 1-line block ×3, first 2 shown]
	v_lshl_add_u32 v47, v121, 4, v122
	s_waitcnt vmcnt(0) lgkmcnt(0)
	s_barrier
	v_cmp_ne_u32_e32 vcc, 0, v52
	v_mul_f64 v[43:44], v[37:38], v[5:6]
	v_mul_f64 v[0:1], v[29:30], v[9:10]
	;; [unrolled: 1-line block ×8, first 2 shown]
	v_fma_f64 v[0:1], v[27:28], v[7:8], v[0:1]
	v_fma_f64 v[7:8], v[29:30], v[7:8], -v[9:10]
	v_fma_f64 v[9:10], v[35:36], v[3:4], v[43:44]
	v_fma_f64 v[5:6], v[37:38], v[3:4], -v[5:6]
	;; [unrolled: 2-line block ×4, first 2 shown]
	v_add_f64 v[17:18], v[19:20], v[0:1]
	v_add_f64 v[31:32], v[21:22], v[7:8]
	v_add_f64 v[27:28], v[0:1], v[9:10]
	v_add_f64 v[29:30], v[7:8], -v[5:6]
	v_add_f64 v[7:8], v[7:8], v[5:6]
	v_add_f64 v[39:40], v[25:26], v[11:12]
	;; [unrolled: 1-line block ×3, first 2 shown]
	v_add_f64 v[37:38], v[11:12], -v[15:16]
	v_add_f64 v[11:12], v[11:12], v[15:16]
	v_add_f64 v[33:34], v[23:24], v[3:4]
	v_add_f64 v[0:1], v[0:1], -v[9:10]
	v_add_f64 v[41:42], v[3:4], -v[13:14]
	v_fma_f64 v[19:20], v[27:28], -0.5, v[19:20]
	v_add_f64 v[3:4], v[17:18], v[9:10]
	v_fma_f64 v[17:18], v[7:8], -0.5, v[21:22]
	v_fma_f64 v[21:22], v[35:36], -0.5, v[23:24]
	;; [unrolled: 1-line block ×3, first 2 shown]
	v_add_f64 v[5:6], v[31:32], v[5:6]
	v_add_f64 v[7:8], v[33:34], v[13:14]
	;; [unrolled: 1-line block ×3, first 2 shown]
	v_fma_f64 v[11:12], v[29:30], s[4:5], v[19:20]
	v_fma_f64 v[15:16], v[29:30], s[6:7], v[19:20]
	;; [unrolled: 1-line block ×8, first 2 shown]
	ds_write_b128 v120, v[3:6]
	ds_write_b128 v120, v[7:10] offset:1920
	ds_write_b128 v120, v[11:14] offset:3840
	;; [unrolled: 1-line block ×5, first 2 shown]
	s_waitcnt lgkmcnt(0)
	s_barrier
	ds_read_b128 v[4:7], v118
	s_add_u32 s6, s12, 0x2c60
	s_addc_u32 s7, s13, 0
	v_sub_u32_e32 v14, v117, v119
                                        ; implicit-def: $vgpr0_vgpr1
                                        ; implicit-def: $vgpr8_vgpr9
                                        ; implicit-def: $vgpr10_vgpr11
                                        ; implicit-def: $vgpr12_vgpr13
	s_and_saveexec_b64 s[4:5], vcc
	s_xor_b64 s[4:5], exec, s[4:5]
	s_cbranch_execz .LBB0_21
; %bb.20:
	v_mov_b32_e32 v53, v2
	v_lshlrev_b64 v[0:1], 4, v[52:53]
	v_mov_b32_e32 v2, s7
	v_add_co_u32_e32 v0, vcc, s6, v0
	v_addc_co_u32_e32 v1, vcc, v2, v1, vcc
	global_load_dwordx4 v[15:18], v[0:1], off
	ds_read_b128 v[0:3], v14 offset:11520
	s_waitcnt lgkmcnt(0)
	v_add_f64 v[8:9], v[4:5], -v[0:1]
	v_add_f64 v[10:11], v[6:7], v[2:3]
	v_add_f64 v[2:3], v[6:7], -v[2:3]
	v_add_f64 v[0:1], v[4:5], v[0:1]
	v_mul_f64 v[6:7], v[8:9], 0.5
	v_mul_f64 v[4:5], v[10:11], 0.5
	;; [unrolled: 1-line block ×3, first 2 shown]
	s_waitcnt vmcnt(0)
	v_mul_f64 v[8:9], v[6:7], v[17:18]
	v_fma_f64 v[10:11], v[4:5], v[17:18], v[2:3]
	v_fma_f64 v[2:3], v[4:5], v[17:18], -v[2:3]
	v_fma_f64 v[12:13], v[0:1], 0.5, v[8:9]
	v_fma_f64 v[0:1], v[0:1], 0.5, -v[8:9]
	v_fma_f64 v[10:11], -v[15:16], v[6:7], v[10:11]
	v_fma_f64 v[2:3], -v[15:16], v[6:7], v[2:3]
	v_fma_f64 v[8:9], v[4:5], v[15:16], v[12:13]
	v_mov_b32_e32 v12, v52
	v_fma_f64 v[0:1], -v[4:5], v[15:16], v[0:1]
	v_mov_b32_e32 v13, v53
                                        ; implicit-def: $vgpr4_vgpr5
.LBB0_21:
	s_andn2_saveexec_b64 s[4:5], s[4:5]
	s_cbranch_execz .LBB0_23
; %bb.22:
	s_waitcnt lgkmcnt(0)
	v_add_f64 v[8:9], v[4:5], v[6:7]
	ds_read_b64 v[2:3], v117 offset:5768
	v_add_f64 v[0:1], v[4:5], -v[6:7]
	v_mov_b32_e32 v10, 0
	v_mov_b32_e32 v11, 0
	;; [unrolled: 1-line block ×3, first 2 shown]
	s_waitcnt lgkmcnt(0)
	v_xor_b32_e32 v3, 0x80000000, v3
	ds_write_b64 v117, v[2:3] offset:5768
	v_mov_b32_e32 v2, v10
	v_mov_b32_e32 v13, 0
	v_mov_b32_e32 v3, v11
.LBB0_23:
	s_or_b64 exec, exec, s[4:5]
	s_waitcnt lgkmcnt(0)
	v_lshlrev_b64 v[4:5], 4, v[12:13]
	v_mov_b32_e32 v6, s7
	v_add_co_u32_e32 v12, vcc, s6, v4
	v_addc_co_u32_e32 v13, vcc, v6, v5, vcc
	global_load_dwordx4 v[4:7], v[12:13], off offset:1920
	global_load_dwordx4 v[15:18], v[12:13], off offset:3840
	ds_write2_b64 v118, v[8:9], v[10:11] offset1:1
	ds_write_b128 v14, v[0:3] offset:11520
	ds_read_b128 v[0:3], v118 offset:1920
	ds_read_b128 v[8:11], v14 offset:9600
	s_waitcnt lgkmcnt(0)
	v_add_f64 v[12:13], v[0:1], -v[8:9]
	v_add_f64 v[19:20], v[2:3], v[10:11]
	v_add_f64 v[2:3], v[2:3], -v[10:11]
	v_add_f64 v[0:1], v[0:1], v[8:9]
	v_mul_f64 v[10:11], v[12:13], 0.5
	v_mul_f64 v[12:13], v[19:20], 0.5
	v_mul_f64 v[2:3], v[2:3], 0.5
	s_waitcnt vmcnt(1)
	v_mul_f64 v[8:9], v[10:11], v[6:7]
	v_fma_f64 v[19:20], v[12:13], v[6:7], v[2:3]
	v_fma_f64 v[2:3], v[12:13], v[6:7], -v[2:3]
	v_fma_f64 v[6:7], v[0:1], 0.5, v[8:9]
	v_fma_f64 v[0:1], v[0:1], 0.5, -v[8:9]
	v_fma_f64 v[8:9], -v[4:5], v[10:11], v[19:20]
	v_fma_f64 v[2:3], -v[4:5], v[10:11], v[2:3]
	v_fma_f64 v[6:7], v[12:13], v[4:5], v[6:7]
	v_fma_f64 v[0:1], -v[12:13], v[4:5], v[0:1]
	ds_write2_b64 v118, v[6:7], v[8:9] offset0:240 offset1:241
	ds_write_b128 v14, v[0:3] offset:9600
	ds_read_b128 v[0:3], v118 offset:3840
	ds_read_b128 v[4:7], v14 offset:7680
	s_waitcnt lgkmcnt(0)
	v_add_f64 v[8:9], v[0:1], -v[4:5]
	v_add_f64 v[10:11], v[2:3], v[6:7]
	v_add_f64 v[2:3], v[2:3], -v[6:7]
	v_add_f64 v[0:1], v[0:1], v[4:5]
	v_mul_f64 v[6:7], v[8:9], 0.5
	v_mul_f64 v[8:9], v[10:11], 0.5
	;; [unrolled: 1-line block ×3, first 2 shown]
	s_waitcnt vmcnt(0)
	v_mul_f64 v[4:5], v[6:7], v[17:18]
	v_fma_f64 v[10:11], v[8:9], v[17:18], v[2:3]
	v_fma_f64 v[2:3], v[8:9], v[17:18], -v[2:3]
	v_fma_f64 v[12:13], v[0:1], 0.5, v[4:5]
	v_fma_f64 v[0:1], v[0:1], 0.5, -v[4:5]
	v_fma_f64 v[4:5], -v[15:16], v[6:7], v[10:11]
	v_fma_f64 v[2:3], -v[15:16], v[6:7], v[2:3]
	v_fma_f64 v[6:7], v[8:9], v[15:16], v[12:13]
	v_fma_f64 v[0:1], -v[8:9], v[15:16], v[0:1]
	v_add_u32_e32 v8, 0x800, v118
	ds_write2_b64 v8, v[6:7], v[4:5] offset0:224 offset1:225
	ds_write_b128 v14, v[0:3] offset:7680
	s_waitcnt lgkmcnt(0)
	s_barrier
	s_and_saveexec_b64 s[4:5], s[0:1]
	s_cbranch_execz .LBB0_26
; %bb.24:
	v_mul_lo_u32 v0, s3, v50
	v_mul_lo_u32 v3, s2, v51
	v_mad_u64_u32 v[1:2], s[0:1], s2, v50, 0
	v_mov_b32_e32 v7, s11
	v_mov_b32_e32 v53, 0
	v_add3_u32 v2, v2, v3, v0
	v_lshlrev_b64 v[1:2], 4, v[1:2]
	v_lshl_add_u32 v0, v52, 4, v117
	v_add_co_u32_e32 v1, vcc, s10, v1
	v_addc_co_u32_e32 v9, vcc, v7, v2, vcc
	v_lshlrev_b64 v[7:8], 4, v[48:49]
	ds_read_b128 v[3:6], v0
	v_add_co_u32_e32 v2, vcc, v1, v7
	v_addc_co_u32_e32 v1, vcc, v9, v8, vcc
	v_lshlrev_b64 v[7:8], 4, v[52:53]
	s_movk_i32 s0, 0x77
	v_add_co_u32_e32 v11, vcc, v2, v7
	v_addc_co_u32_e32 v12, vcc, v1, v8, vcc
	ds_read_b128 v[7:10], v0 offset:1920
	s_waitcnt lgkmcnt(1)
	global_store_dwordx4 v[11:12], v[3:6], off
	s_nop 0
	v_add_u32_e32 v3, 0x78, v52
	v_mov_b32_e32 v4, v53
	v_lshlrev_b64 v[3:4], 4, v[3:4]
	v_add_co_u32_e32 v3, vcc, v2, v3
	v_addc_co_u32_e32 v4, vcc, v1, v4, vcc
	s_waitcnt lgkmcnt(0)
	global_store_dwordx4 v[3:4], v[7:10], off
	ds_read_b128 v[3:6], v0 offset:3840
	v_add_u32_e32 v7, 0xf0, v52
	v_mov_b32_e32 v8, v53
	v_lshlrev_b64 v[7:8], 4, v[7:8]
	v_add_co_u32_e32 v11, vcc, v2, v7
	v_addc_co_u32_e32 v12, vcc, v1, v8, vcc
	ds_read_b128 v[7:10], v0 offset:5760
	s_waitcnt lgkmcnt(1)
	global_store_dwordx4 v[11:12], v[3:6], off
	s_nop 0
	v_add_u32_e32 v3, 0x168, v52
	v_mov_b32_e32 v4, v53
	v_lshlrev_b64 v[3:4], 4, v[3:4]
	v_add_co_u32_e32 v3, vcc, v2, v3
	v_addc_co_u32_e32 v4, vcc, v1, v4, vcc
	s_waitcnt lgkmcnt(0)
	global_store_dwordx4 v[3:4], v[7:10], off
	ds_read_b128 v[3:6], v0 offset:7680
	v_add_u32_e32 v7, 0x1e0, v52
	v_mov_b32_e32 v8, v53
	v_lshlrev_b64 v[7:8], 4, v[7:8]
	v_add_co_u32_e32 v11, vcc, v2, v7
	v_addc_co_u32_e32 v12, vcc, v1, v8, vcc
	ds_read_b128 v[7:10], v0 offset:9600
	s_waitcnt lgkmcnt(1)
	global_store_dwordx4 v[11:12], v[3:6], off
	s_nop 0
	v_add_u32_e32 v3, 0x258, v52
	v_mov_b32_e32 v4, v53
	v_lshlrev_b64 v[3:4], 4, v[3:4]
	v_add_co_u32_e32 v3, vcc, v2, v3
	v_addc_co_u32_e32 v4, vcc, v1, v4, vcc
	v_cmp_eq_u32_e32 vcc, s0, v52
	s_waitcnt lgkmcnt(0)
	global_store_dwordx4 v[3:4], v[7:10], off
	s_and_b64 exec, exec, vcc
	s_cbranch_execz .LBB0_26
; %bb.25:
	ds_read_b128 v[3:6], v0 offset:9616
	v_add_co_u32_e32 v0, vcc, 0x2000, v2
	v_addc_co_u32_e32 v1, vcc, 0, v1, vcc
	s_waitcnt lgkmcnt(0)
	global_store_dwordx4 v[0:1], v[3:6], off offset:3328
.LBB0_26:
	s_endpgm
	.section	.rodata,"a",@progbits
	.p2align	6, 0x0
	.amdhsa_kernel fft_rtc_back_len720_factors_10_3_8_3_wgs_240_tpt_120_halfLds_dp_op_CI_CI_unitstride_sbrr_R2C_dirReg
		.amdhsa_group_segment_fixed_size 0
		.amdhsa_private_segment_fixed_size 0
		.amdhsa_kernarg_size 104
		.amdhsa_user_sgpr_count 6
		.amdhsa_user_sgpr_private_segment_buffer 1
		.amdhsa_user_sgpr_dispatch_ptr 0
		.amdhsa_user_sgpr_queue_ptr 0
		.amdhsa_user_sgpr_kernarg_segment_ptr 1
		.amdhsa_user_sgpr_dispatch_id 0
		.amdhsa_user_sgpr_flat_scratch_init 0
		.amdhsa_user_sgpr_private_segment_size 0
		.amdhsa_uses_dynamic_stack 0
		.amdhsa_system_sgpr_private_segment_wavefront_offset 0
		.amdhsa_system_sgpr_workgroup_id_x 1
		.amdhsa_system_sgpr_workgroup_id_y 0
		.amdhsa_system_sgpr_workgroup_id_z 0
		.amdhsa_system_sgpr_workgroup_info 0
		.amdhsa_system_vgpr_workitem_id 0
		.amdhsa_next_free_vgpr 128
		.amdhsa_next_free_sgpr 28
		.amdhsa_reserve_vcc 1
		.amdhsa_reserve_flat_scratch 0
		.amdhsa_float_round_mode_32 0
		.amdhsa_float_round_mode_16_64 0
		.amdhsa_float_denorm_mode_32 3
		.amdhsa_float_denorm_mode_16_64 3
		.amdhsa_dx10_clamp 1
		.amdhsa_ieee_mode 1
		.amdhsa_fp16_overflow 0
		.amdhsa_exception_fp_ieee_invalid_op 0
		.amdhsa_exception_fp_denorm_src 0
		.amdhsa_exception_fp_ieee_div_zero 0
		.amdhsa_exception_fp_ieee_overflow 0
		.amdhsa_exception_fp_ieee_underflow 0
		.amdhsa_exception_fp_ieee_inexact 0
		.amdhsa_exception_int_div_zero 0
	.end_amdhsa_kernel
	.text
.Lfunc_end0:
	.size	fft_rtc_back_len720_factors_10_3_8_3_wgs_240_tpt_120_halfLds_dp_op_CI_CI_unitstride_sbrr_R2C_dirReg, .Lfunc_end0-fft_rtc_back_len720_factors_10_3_8_3_wgs_240_tpt_120_halfLds_dp_op_CI_CI_unitstride_sbrr_R2C_dirReg
                                        ; -- End function
	.section	.AMDGPU.csdata,"",@progbits
; Kernel info:
; codeLenInByte = 6608
; NumSgprs: 32
; NumVgprs: 128
; ScratchSize: 0
; MemoryBound: 0
; FloatMode: 240
; IeeeMode: 1
; LDSByteSize: 0 bytes/workgroup (compile time only)
; SGPRBlocks: 3
; VGPRBlocks: 31
; NumSGPRsForWavesPerEU: 32
; NumVGPRsForWavesPerEU: 128
; Occupancy: 2
; WaveLimiterHint : 1
; COMPUTE_PGM_RSRC2:SCRATCH_EN: 0
; COMPUTE_PGM_RSRC2:USER_SGPR: 6
; COMPUTE_PGM_RSRC2:TRAP_HANDLER: 0
; COMPUTE_PGM_RSRC2:TGID_X_EN: 1
; COMPUTE_PGM_RSRC2:TGID_Y_EN: 0
; COMPUTE_PGM_RSRC2:TGID_Z_EN: 0
; COMPUTE_PGM_RSRC2:TIDIG_COMP_CNT: 0
	.type	__hip_cuid_5b6f3e22fff54b18,@object ; @__hip_cuid_5b6f3e22fff54b18
	.section	.bss,"aw",@nobits
	.globl	__hip_cuid_5b6f3e22fff54b18
__hip_cuid_5b6f3e22fff54b18:
	.byte	0                               ; 0x0
	.size	__hip_cuid_5b6f3e22fff54b18, 1

	.ident	"AMD clang version 19.0.0git (https://github.com/RadeonOpenCompute/llvm-project roc-6.4.0 25133 c7fe45cf4b819c5991fe208aaa96edf142730f1d)"
	.section	".note.GNU-stack","",@progbits
	.addrsig
	.addrsig_sym __hip_cuid_5b6f3e22fff54b18
	.amdgpu_metadata
---
amdhsa.kernels:
  - .args:
      - .actual_access:  read_only
        .address_space:  global
        .offset:         0
        .size:           8
        .value_kind:     global_buffer
      - .offset:         8
        .size:           8
        .value_kind:     by_value
      - .actual_access:  read_only
        .address_space:  global
        .offset:         16
        .size:           8
        .value_kind:     global_buffer
      - .actual_access:  read_only
        .address_space:  global
        .offset:         24
        .size:           8
        .value_kind:     global_buffer
      - .actual_access:  read_only
        .address_space:  global
        .offset:         32
        .size:           8
        .value_kind:     global_buffer
      - .offset:         40
        .size:           8
        .value_kind:     by_value
      - .actual_access:  read_only
        .address_space:  global
        .offset:         48
        .size:           8
        .value_kind:     global_buffer
      - .actual_access:  read_only
        .address_space:  global
        .offset:         56
        .size:           8
        .value_kind:     global_buffer
      - .offset:         64
        .size:           4
        .value_kind:     by_value
      - .actual_access:  read_only
        .address_space:  global
        .offset:         72
        .size:           8
        .value_kind:     global_buffer
      - .actual_access:  read_only
        .address_space:  global
        .offset:         80
        .size:           8
        .value_kind:     global_buffer
      - .actual_access:  read_only
        .address_space:  global
        .offset:         88
        .size:           8
        .value_kind:     global_buffer
      - .actual_access:  write_only
        .address_space:  global
        .offset:         96
        .size:           8
        .value_kind:     global_buffer
    .group_segment_fixed_size: 0
    .kernarg_segment_align: 8
    .kernarg_segment_size: 104
    .language:       OpenCL C
    .language_version:
      - 2
      - 0
    .max_flat_workgroup_size: 240
    .name:           fft_rtc_back_len720_factors_10_3_8_3_wgs_240_tpt_120_halfLds_dp_op_CI_CI_unitstride_sbrr_R2C_dirReg
    .private_segment_fixed_size: 0
    .sgpr_count:     32
    .sgpr_spill_count: 0
    .symbol:         fft_rtc_back_len720_factors_10_3_8_3_wgs_240_tpt_120_halfLds_dp_op_CI_CI_unitstride_sbrr_R2C_dirReg.kd
    .uniform_work_group_size: 1
    .uses_dynamic_stack: false
    .vgpr_count:     128
    .vgpr_spill_count: 0
    .wavefront_size: 64
amdhsa.target:   amdgcn-amd-amdhsa--gfx906
amdhsa.version:
  - 1
  - 2
...

	.end_amdgpu_metadata
